;; amdgpu-corpus repo=ROCm/rocm-examples kind=compiled arch=gfx1100 opt=O3
	.text
	.amdgcn_target "amdgcn-amd-amdhsa--gfx1100"
	.amdhsa_code_object_version 6
	.protected	_Z12dlrm_dot_fwdPKDF16_PDF16_Pfjjjjjj ; -- Begin function _Z12dlrm_dot_fwdPKDF16_PDF16_Pfjjjjjj
	.globl	_Z12dlrm_dot_fwdPKDF16_PDF16_Pfjjjjjj
	.p2align	8
	.type	_Z12dlrm_dot_fwdPKDF16_PDF16_Pfjjjjjj,@function
_Z12dlrm_dot_fwdPKDF16_PDF16_Pfjjjjjj:  ; @_Z12dlrm_dot_fwdPKDF16_PDF16_Pfjjjjjj
; %bb.0:
	s_clause 0x3
	s_load_b32 s12, s[0:1], 0x3c
	s_load_b64 s[2:3], s[0:1], 0x18
	s_load_b128 s[8:11], s[0:1], 0x24
	s_load_b128 s[4:7], s[0:1], 0x0
	s_add_u32 s16, s0, 48
	v_and_b32_e32 v8, 0x3ff, v0
	s_addc_u32 s17, s1, 0
	s_or_b32 s18, s13, s14
	s_waitcnt lgkmcnt(0)
	s_and_b32 s11, s12, 0xffff
	s_cmp_lg_u32 s18, 0
	v_mad_u64_u32 v[1:2], null, s13, s11, v[8:9]
	s_cselect_b32 s12, -1, 0
	s_cmpk_lt_u32 s3, 0x80
	s_mul_i32 s9, s15, s9
	s_cselect_b32 s18, -1, 0
	s_delay_alu instid0(SALU_CYCLE_1) | instskip(NEXT) | instid1(SALU_CYCLE_1)
	s_or_b32 s12, s12, s18
	s_and_b32 vcc_lo, exec_lo, s12
	s_cbranch_vccnz .LBB0_5
; %bb.1:
	v_dual_mov_b32 v3, 0 :: v_dual_mov_b32 v4, v1
	s_lshr_b32 s12, s3, 7
	s_mul_i32 s13, s15, s8
	s_set_inst_prefetch_distance 0x1
	s_branch .LBB0_3
	.p2align	6
.LBB0_2:                                ;   in Loop: Header=BB0_3 Depth=1
	s_or_b32 exec_lo, exec_lo, s18
	v_add_nc_u32_e32 v4, s11, v4
	s_add_i32 s12, s12, -1
	s_delay_alu instid0(SALU_CYCLE_1)
	s_cmp_lg_u32 s12, 0
	s_cbranch_scc0 .LBB0_5
.LBB0_3:                                ; =>This Inner Loop Header: Depth=1
	s_mov_b32 s18, exec_lo
	v_cmpx_gt_u32_e64 s3, v4
	s_cbranch_execz .LBB0_2
; %bb.4:                                ;   in Loop: Header=BB0_3 Depth=1
	v_add_nc_u32_e32 v2, s13, v4
	s_delay_alu instid0(VALU_DEP_1) | instskip(SKIP_1) | instid1(VALU_DEP_2)
	v_lshlrev_b64 v[5:6], 1, v[2:3]
	v_add_nc_u32_e32 v2, s9, v4
	v_add_co_u32 v5, vcc_lo, s4, v5
	s_delay_alu instid0(VALU_DEP_3) | instskip(SKIP_2) | instid1(VALU_DEP_1)
	v_add_co_ci_u32_e32 v6, vcc_lo, s5, v6, vcc_lo
	global_load_u16 v7, v[5:6], off
	v_lshlrev_b64 v[5:6], 1, v[2:3]
	v_add_co_u32 v5, vcc_lo, s6, v5
	s_delay_alu instid0(VALU_DEP_2)
	v_add_co_ci_u32_e32 v6, vcc_lo, s7, v6, vcc_lo
	s_waitcnt vmcnt(0)
	global_store_b16 v[5:6], v7, off
	s_branch .LBB0_2
.LBB0_5:
	s_set_inst_prefetch_distance 0x2
	s_load_b32 s11, s[16:17], 0xc
	v_bfe_u32 v0, v0, 10, 10
	s_waitcnt lgkmcnt(0)
	s_lshr_b32 s11, s11, 16
	s_delay_alu instid0(VALU_DEP_1) | instid1(SALU_CYCLE_1)
	v_mad_u64_u32 v[2:3], null, s14, s11, v[0:1]
	v_lshrrev_b32_e32 v0, 1, v1
	s_mov_b32 s11, exec_lo
	s_delay_alu instid0(VALU_DEP_1) | instskip(NEXT) | instid1(VALU_DEP_3)
	v_and_b32_e32 v16, 0x7ffffff0, v0
	v_lshlrev_b32_e32 v9, 4, v2
	s_delay_alu instid0(VALU_DEP_1) | instskip(NEXT) | instid1(VALU_DEP_1)
	v_max_u32_e32 v0, v16, v9
	v_cmpx_gt_u32_e64 s2, v0
	s_cbranch_execz .LBB0_28
; %bb.6:
	v_and_b32_e32 v17, 15, v8
	v_lshrrev_b32_e32 v18, 1, v8
	s_cmp_gt_u32 s3, 15
	s_cbranch_scc0 .LBB0_10
; %bb.7:
	v_dual_mov_b32 v1, 0 :: v_dual_and_b32 v10, 15, v8
	v_mul_lo_u32 v2, v16, s3
	v_and_b32_e32 v11, 8, v18
	v_mul_lo_u32 v0, v9, s3
	s_delay_alu instid0(VALU_DEP_4) | instskip(SKIP_3) | instid1(VALU_DEP_2)
	v_mov_b32_e32 v3, v1
	s_mul_i32 s12, s15, s8
	s_mov_b32 s13, 0
	v_mad_u64_u32 v[4:5], null, v10, s3, v[11:12]
	v_lshlrev_b64 v[2:3], 1, v[2:3]
	v_mov_b32_e32 v5, v1
	s_lshl_b64 s[12:13], s[12:13], 1
	v_lshlrev_b64 v[6:7], 1, v[0:1]
	s_delay_alu instid0(VALU_DEP_3) | instskip(NEXT) | instid1(VALU_DEP_4)
	v_add_co_u32 v0, vcc_lo, v2, s12
	v_add_co_ci_u32_e32 v12, vcc_lo, s13, v3, vcc_lo
	v_lshlrev_b64 v[2:3], 1, v[4:5]
	s_delay_alu instid0(VALU_DEP_4) | instskip(SKIP_2) | instid1(VALU_DEP_4)
	v_add_co_u32 v4, vcc_lo, v6, s12
	v_add_co_ci_u32_e32 v5, vcc_lo, s13, v7, vcc_lo
	v_mov_b32_e32 v7, v1
	v_add_co_u32 v0, vcc_lo, v0, v2
	v_add_co_ci_u32_e32 v6, vcc_lo, v12, v3, vcc_lo
	v_add_co_u32 v2, vcc_lo, v4, v2
	v_add_co_ci_u32_e32 v3, vcc_lo, v5, v3, vcc_lo
	s_delay_alu instid0(VALU_DEP_4)
	v_add_co_u32 v12, vcc_lo, s4, v0
	v_mov_b32_e32 v0, v1
	v_add_co_ci_u32_e32 v13, vcc_lo, s5, v6, vcc_lo
	v_add_co_u32 v14, vcc_lo, s4, v2
	v_add_co_ci_u32_e32 v15, vcc_lo, s5, v3, vcc_lo
	v_mov_b32_e32 v2, v1
	v_mov_b32_e32 v3, v1
	;; [unrolled: 1-line block ×5, first 2 shown]
	s_lshr_b32 s4, s3, 4
	.p2align	6
.LBB0_8:                                ; =>This Inner Loop Header: Depth=1
	s_waitcnt_vscnt null, 0x0
	s_barrier
	buffer_gl0_inv
	global_load_b128 v[19:22], v[12:13], off
	global_load_b128 v[27:30], v[14:15], off
	v_add_co_u32 v12, vcc_lo, v12, 32
	v_add_co_ci_u32_e32 v13, vcc_lo, 0, v13, vcc_lo
	v_add_co_u32 v14, vcc_lo, v14, 32
	v_add_co_ci_u32_e32 v15, vcc_lo, 0, v15, vcc_lo
	s_add_i32 s4, s4, -1
	s_delay_alu instid0(SALU_CYCLE_1)
	s_cmp_eq_u32 s4, 0
	s_waitcnt vmcnt(1)
	ds_swizzle_b32 v23, v19 offset:swizzle(SWAP,16)
	ds_swizzle_b32 v24, v20 offset:swizzle(SWAP,16)
	;; [unrolled: 1-line block ×4, first 2 shown]
	s_waitcnt vmcnt(0)
	ds_swizzle_b32 v31, v27 offset:swizzle(SWAP,16)
	ds_swizzle_b32 v32, v28 offset:swizzle(SWAP,16)
	ds_swizzle_b32 v33, v29 offset:swizzle(SWAP,16)
	ds_swizzle_b32 v34, v30 offset:swizzle(SWAP,16)
	s_waitcnt lgkmcnt(0)
	v_wmma_f32_16x16x16_f16 v[0:7], v[19:26], v[27:34], v[0:7]
	s_cbranch_scc0 .LBB0_8
; %bb.9:
	s_branch .LBB0_12
.LBB0_10:
                                        ; implicit-def: $vgpr7
                                        ; implicit-def: $vgpr10
                                        ; implicit-def: $vgpr11
	s_cbranch_execz .LBB0_12
; %bb.11:
	s_delay_alu instid0(VALU_DEP_1)
	v_dual_mov_b32 v0, 0 :: v_dual_and_b32 v11, 8, v18
	v_dual_mov_b32 v10, v17 :: v_dual_mov_b32 v1, 0
	v_dual_mov_b32 v2, 0 :: v_dual_mov_b32 v3, 0
	;; [unrolled: 1-line block ×4, first 2 shown]
.LBB0_12:
	s_load_b64 s[0:1], s[0:1], 0x10
	ds_swizzle_b32 v23, v6 offset:50688
	ds_swizzle_b32 v24, v7 offset:50688
	;; [unrolled: 1-line block ×4, first 2 shown]
	v_mad_u64_u32 v[12:13], null, v16, s2, v[9:10]
	v_mad_u64_u32 v[17:18], null, v11, s2, v[10:11]
	v_mov_b32_e32 v13, 0
	ds_swizzle_b32 v19, v0 offset:50688
	ds_swizzle_b32 v20, v1 offset:50688
	s_mul_i32 s4, s15, s10
	s_mov_b32 s5, 0
	v_lshlrev_b64 v[14:15], 2, v[12:13]
	v_add_nc_u32_e32 v12, s2, v17
	v_mov_b32_e32 v18, v13
	s_lshl_b64 s[10:11], s[4:5], 2
	ds_swizzle_b32 v25, v2 offset:50688
	ds_swizzle_b32 v26, v3 offset:50688
	s_waitcnt lgkmcnt(0)
	s_add_u32 s5, s0, s10
	v_mov_b32_dpp v23, v2 quad_perm:[0,1,2,3] row_mask:0x5 bank_mask:0xf
	v_mov_b32_dpp v24, v3 quad_perm:[0,1,2,3] row_mask:0x5 bank_mask:0xf
	v_lshlrev_b64 v[2:3], 2, v[12:13]
	v_add_nc_u32_e32 v12, s2, v12
	v_mov_b32_dpp v21, v0 quad_perm:[0,1,2,3] row_mask:0x5 bank_mask:0xf
	v_mov_b32_dpp v22, v1 quad_perm:[0,1,2,3] row_mask:0x5 bank_mask:0xf
	v_lshlrev_b64 v[0:1], 2, v[17:18]
	s_addc_u32 s8, s1, s11
	v_add_co_u32 v27, vcc_lo, s5, v14
	v_add_co_ci_u32_e32 v28, vcc_lo, s8, v15, vcc_lo
	v_lshlrev_b64 v[14:15], 2, v[12:13]
	v_add_nc_u32_e32 v12, s2, v12
	s_delay_alu instid0(VALU_DEP_4) | instskip(NEXT) | instid1(VALU_DEP_4)
	v_add_co_u32 v0, vcc_lo, v27, v0
	v_add_co_ci_u32_e32 v1, vcc_lo, v28, v1, vcc_lo
	v_add_co_u32 v2, vcc_lo, v27, v2
	s_delay_alu instid0(VALU_DEP_4)
	v_lshlrev_b64 v[17:18], 2, v[12:13]
	v_add_nc_u32_e32 v12, s2, v12
	v_add_co_ci_u32_e32 v3, vcc_lo, v28, v3, vcc_lo
	v_add_co_u32 v14, vcc_lo, v27, v14
	v_mov_b32_dpp v4, v19 quad_perm:[0,1,2,3] row_mask:0x5 bank_mask:0xf
	v_mov_b32_dpp v5, v20 quad_perm:[0,1,2,3] row_mask:0x5 bank_mask:0xf
	v_add_co_ci_u32_e32 v15, vcc_lo, v28, v15, vcc_lo
	v_lshlrev_b64 v[19:20], 2, v[12:13]
	v_add_nc_u32_e32 v12, s2, v12
	v_add_co_u32 v17, vcc_lo, v27, v17
	v_add_co_ci_u32_e32 v18, vcc_lo, v28, v18, vcc_lo
	s_waitcnt_vscnt null, 0x0
	s_barrier
	buffer_gl0_inv
	s_clause 0x3
	global_store_b32 v[0:1], v21, off
	global_store_b32 v[2:3], v4, off
	;; [unrolled: 1-line block ×4, first 2 shown]
	v_lshlrev_b64 v[0:1], 2, v[12:13]
	v_add_nc_u32_e32 v12, s2, v12
	v_add_co_u32 v14, vcc_lo, v27, v19
	v_add_co_ci_u32_e32 v15, vcc_lo, v28, v20, vcc_lo
	s_delay_alu instid0(VALU_DEP_3) | instskip(SKIP_3) | instid1(VALU_DEP_3)
	v_lshlrev_b64 v[2:3], 2, v[12:13]
	v_add_nc_u32_e32 v12, s2, v12
	v_add_co_u32 v17, vcc_lo, v27, v0
	v_add_co_ci_u32_e32 v18, vcc_lo, v28, v1, vcc_lo
	v_lshlrev_b64 v[0:1], 2, v[12:13]
	v_lshrrev_b32_e32 v5, 4, v8
	v_or_b32_e32 v4, v9, v10
	v_add_co_u32 v11, vcc_lo, v27, v2
	v_add_co_ci_u32_e32 v12, vcc_lo, v28, v3, vcc_lo
	s_delay_alu instid0(VALU_DEP_4)
	v_and_or_b32 v3, v5, 1, v16
	v_add_co_u32 v8, vcc_lo, v27, v0
	v_add_nc_u32_e32 v0, s4, v4
	v_add3_u32 v2, s9, s3, v4
	v_mov_b32_dpp v6, v25 quad_perm:[0,1,2,3] row_mask:0x5 bank_mask:0xf
	v_mov_b32_dpp v7, v26 quad_perm:[0,1,2,3] row_mask:0x5 bank_mask:0xf
	v_add_co_ci_u32_e32 v9, vcc_lo, v28, v1, vcc_lo
	s_mov_b32 s3, exec_lo
	s_clause 0x3
	global_store_b32 v[14:15], v23, off
	global_store_b32 v[17:18], v6, off
	;; [unrolled: 1-line block ×4, first 2 shown]
	v_cmpx_gt_u32_e64 v3, v4
	s_cbranch_execz .LBB0_14
; %bb.13:
	v_mad_u64_u32 v[5:6], null, v3, s2, v[0:1]
	v_mov_b32_e32 v6, v13
	s_delay_alu instid0(VALU_DEP_1) | instskip(NEXT) | instid1(VALU_DEP_1)
	v_lshlrev_b64 v[5:6], 2, v[5:6]
	v_add_co_u32 v5, vcc_lo, s0, v5
	s_delay_alu instid0(VALU_DEP_2) | instskip(SKIP_2) | instid1(VALU_DEP_1)
	v_add_co_ci_u32_e32 v6, vcc_lo, s1, v6, vcc_lo
	global_load_b32 v1, v[5:6], off
	v_add_nc_u32_e32 v5, -1, v3
	v_mul_lo_u32 v5, v5, v3
	s_delay_alu instid0(VALU_DEP_1) | instskip(NEXT) | instid1(VALU_DEP_1)
	v_lshrrev_b32_e32 v5, 1, v5
	v_add_nc_u32_e32 v12, v2, v5
	s_delay_alu instid0(VALU_DEP_1) | instskip(NEXT) | instid1(VALU_DEP_1)
	v_lshlrev_b64 v[5:6], 1, v[12:13]
	v_add_co_u32 v5, vcc_lo, s6, v5
	s_delay_alu instid0(VALU_DEP_2)
	v_add_co_ci_u32_e32 v6, vcc_lo, s7, v6, vcc_lo
	s_waitcnt vmcnt(0)
	v_cvt_f16_f32_e32 v1, v1
	global_store_b16 v[5:6], v1, off
.LBB0_14:
	s_or_b32 exec_lo, exec_lo, s3
	v_or_b32_e32 v1, 2, v3
	s_mov_b32 s3, exec_lo
	s_delay_alu instid0(VALU_DEP_1)
	v_cmpx_gt_u32_e64 v1, v4
	s_cbranch_execz .LBB0_16
; %bb.15:
	v_mad_u64_u32 v[5:6], null, v1, s2, v[0:1]
	v_mov_b32_e32 v6, 0
	s_delay_alu instid0(VALU_DEP_1) | instskip(NEXT) | instid1(VALU_DEP_1)
	v_lshlrev_b64 v[7:8], 2, v[5:6]
	v_add_co_u32 v7, vcc_lo, s0, v7
	s_delay_alu instid0(VALU_DEP_2) | instskip(SKIP_2) | instid1(VALU_DEP_1)
	v_add_co_ci_u32_e32 v8, vcc_lo, s1, v8, vcc_lo
	global_load_b32 v9, v[7:8], off
	v_mad_u64_u32 v[7:8], null, v1, v3, v[1:2]
	v_lshrrev_b32_e32 v1, 1, v7
	s_delay_alu instid0(VALU_DEP_1) | instskip(NEXT) | instid1(VALU_DEP_1)
	v_add_nc_u32_e32 v5, v2, v1
	v_lshlrev_b64 v[5:6], 1, v[5:6]
	s_delay_alu instid0(VALU_DEP_1) | instskip(NEXT) | instid1(VALU_DEP_2)
	v_add_co_u32 v5, vcc_lo, s6, v5
	v_add_co_ci_u32_e32 v6, vcc_lo, s7, v6, vcc_lo
	s_waitcnt vmcnt(0)
	v_cvt_f16_f32_e32 v1, v9
	global_store_b16 v[5:6], v1, off
.LBB0_16:
	s_or_b32 exec_lo, exec_lo, s3
	v_or_b32_e32 v1, 4, v3
	s_mov_b32 s3, exec_lo
	s_delay_alu instid0(VALU_DEP_1)
	v_cmpx_gt_u32_e64 v1, v4
	s_cbranch_execz .LBB0_18
; %bb.17:
	v_mad_u64_u32 v[5:6], null, v1, s2, v[0:1]
	v_mov_b32_e32 v6, 0
	s_delay_alu instid0(VALU_DEP_1) | instskip(SKIP_1) | instid1(VALU_DEP_1)
	v_lshlrev_b64 v[7:8], 2, v[5:6]
	v_add_nc_u32_e32 v5, 3, v3
	v_mul_lo_u32 v1, v5, v1
	s_delay_alu instid0(VALU_DEP_3) | instskip(NEXT) | instid1(VALU_DEP_4)
	v_add_co_u32 v7, vcc_lo, s0, v7
	v_add_co_ci_u32_e32 v8, vcc_lo, s1, v8, vcc_lo
	global_load_b32 v7, v[7:8], off
	v_lshrrev_b32_e32 v1, 1, v1
	s_delay_alu instid0(VALU_DEP_1) | instskip(NEXT) | instid1(VALU_DEP_1)
	v_add_nc_u32_e32 v5, v2, v1
	v_lshlrev_b64 v[5:6], 1, v[5:6]
	s_delay_alu instid0(VALU_DEP_1) | instskip(NEXT) | instid1(VALU_DEP_2)
	v_add_co_u32 v5, vcc_lo, s6, v5
	v_add_co_ci_u32_e32 v6, vcc_lo, s7, v6, vcc_lo
	s_waitcnt vmcnt(0)
	v_cvt_f16_f32_e32 v1, v7
	global_store_b16 v[5:6], v1, off
.LBB0_18:
	s_or_b32 exec_lo, exec_lo, s3
	v_or_b32_e32 v1, 6, v3
	s_mov_b32 s3, exec_lo
	s_delay_alu instid0(VALU_DEP_1)
	v_cmpx_gt_u32_e64 v1, v4
	s_cbranch_execz .LBB0_20
; %bb.19:
	v_mad_u64_u32 v[5:6], null, v1, s2, v[0:1]
	v_mov_b32_e32 v6, 0
	s_delay_alu instid0(VALU_DEP_1) | instskip(SKIP_1) | instid1(VALU_DEP_1)
	v_lshlrev_b64 v[7:8], 2, v[5:6]
	v_add_nc_u32_e32 v5, 5, v3
	v_mul_lo_u32 v1, v5, v1
	s_delay_alu instid0(VALU_DEP_3) | instskip(NEXT) | instid1(VALU_DEP_4)
	v_add_co_u32 v7, vcc_lo, s0, v7
	v_add_co_ci_u32_e32 v8, vcc_lo, s1, v8, vcc_lo
	global_load_b32 v7, v[7:8], off
	v_lshrrev_b32_e32 v1, 1, v1
	s_delay_alu instid0(VALU_DEP_1) | instskip(NEXT) | instid1(VALU_DEP_1)
	v_add_nc_u32_e32 v5, v2, v1
	v_lshlrev_b64 v[5:6], 1, v[5:6]
	s_delay_alu instid0(VALU_DEP_1) | instskip(NEXT) | instid1(VALU_DEP_2)
	v_add_co_u32 v5, vcc_lo, s6, v5
	v_add_co_ci_u32_e32 v6, vcc_lo, s7, v6, vcc_lo
	s_waitcnt vmcnt(0)
	v_cvt_f16_f32_e32 v1, v7
	global_store_b16 v[5:6], v1, off
.LBB0_20:
	;; [unrolled: 28-line block ×5, first 2 shown]
	s_or_b32 exec_lo, exec_lo, s3
	v_or_b32_e32 v1, 14, v3
	s_delay_alu instid0(VALU_DEP_1)
	v_cmp_gt_u32_e32 vcc_lo, v1, v4
	s_and_b32 exec_lo, exec_lo, vcc_lo
	s_cbranch_execz .LBB0_28
; %bb.27:
	v_mad_u64_u32 v[4:5], null, v1, s2, v[0:1]
	v_dual_mov_b32 v5, 0 :: v_dual_add_nc_u32 v0, 13, v3
	s_delay_alu instid0(VALU_DEP_1) | instskip(NEXT) | instid1(VALU_DEP_2)
	v_mul_lo_u32 v0, v0, v1
	v_lshlrev_b64 v[6:7], 2, v[4:5]
	s_delay_alu instid0(VALU_DEP_1) | instskip(NEXT) | instid1(VALU_DEP_2)
	v_add_co_u32 v6, vcc_lo, s0, v6
	v_add_co_ci_u32_e32 v7, vcc_lo, s1, v7, vcc_lo
	s_delay_alu instid0(VALU_DEP_4) | instskip(SKIP_2) | instid1(VALU_DEP_1)
	v_lshrrev_b32_e32 v0, 1, v0
	global_load_b32 v6, v[6:7], off
	v_add_nc_u32_e32 v4, v2, v0
	v_lshlrev_b64 v[0:1], 1, v[4:5]
	s_delay_alu instid0(VALU_DEP_1) | instskip(NEXT) | instid1(VALU_DEP_2)
	v_add_co_u32 v0, vcc_lo, s6, v0
	v_add_co_ci_u32_e32 v1, vcc_lo, s7, v1, vcc_lo
	s_waitcnt vmcnt(0)
	v_cvt_f16_f32_e32 v2, v6
	global_store_b16 v[0:1], v2, off
.LBB0_28:
	s_nop 0
	s_sendmsg sendmsg(MSG_DEALLOC_VGPRS)
	s_endpgm
	.section	.rodata,"a",@progbits
	.p2align	6, 0x0
	.amdhsa_kernel _Z12dlrm_dot_fwdPKDF16_PDF16_Pfjjjjjj
		.amdhsa_group_segment_fixed_size 0
		.amdhsa_private_segment_fixed_size 0
		.amdhsa_kernarg_size 304
		.amdhsa_user_sgpr_count 13
		.amdhsa_user_sgpr_dispatch_ptr 0
		.amdhsa_user_sgpr_queue_ptr 0
		.amdhsa_user_sgpr_kernarg_segment_ptr 1
		.amdhsa_user_sgpr_dispatch_id 0
		.amdhsa_user_sgpr_private_segment_size 0
		.amdhsa_wavefront_size32 1
		.amdhsa_uses_dynamic_stack 0
		.amdhsa_enable_private_segment 0
		.amdhsa_system_sgpr_workgroup_id_x 1
		.amdhsa_system_sgpr_workgroup_id_y 1
		.amdhsa_system_sgpr_workgroup_id_z 1
		.amdhsa_system_sgpr_workgroup_info 0
		.amdhsa_system_vgpr_workitem_id 1
		.amdhsa_next_free_vgpr 35
		.amdhsa_next_free_sgpr 19
		.amdhsa_reserve_vcc 1
		.amdhsa_float_round_mode_32 0
		.amdhsa_float_round_mode_16_64 0
		.amdhsa_float_denorm_mode_32 3
		.amdhsa_float_denorm_mode_16_64 3
		.amdhsa_dx10_clamp 1
		.amdhsa_ieee_mode 1
		.amdhsa_fp16_overflow 0
		.amdhsa_workgroup_processor_mode 1
		.amdhsa_memory_ordered 1
		.amdhsa_forward_progress 0
		.amdhsa_shared_vgpr_count 0
		.amdhsa_exception_fp_ieee_invalid_op 0
		.amdhsa_exception_fp_denorm_src 0
		.amdhsa_exception_fp_ieee_div_zero 0
		.amdhsa_exception_fp_ieee_overflow 0
		.amdhsa_exception_fp_ieee_underflow 0
		.amdhsa_exception_fp_ieee_inexact 0
		.amdhsa_exception_int_div_zero 0
	.end_amdhsa_kernel
	.text
.Lfunc_end0:
	.size	_Z12dlrm_dot_fwdPKDF16_PDF16_Pfjjjjjj, .Lfunc_end0-_Z12dlrm_dot_fwdPKDF16_PDF16_Pfjjjjjj
                                        ; -- End function
	.section	.AMDGPU.csdata,"",@progbits
; Kernel info:
; codeLenInByte = 2408
; NumSgprs: 21
; NumVgprs: 35
; ScratchSize: 0
; MemoryBound: 0
; FloatMode: 240
; IeeeMode: 1
; LDSByteSize: 0 bytes/workgroup (compile time only)
; SGPRBlocks: 2
; VGPRBlocks: 4
; NumSGPRsForWavesPerEU: 21
; NumVGPRsForWavesPerEU: 35
; Occupancy: 16
; WaveLimiterHint : 0
; COMPUTE_PGM_RSRC2:SCRATCH_EN: 0
; COMPUTE_PGM_RSRC2:USER_SGPR: 13
; COMPUTE_PGM_RSRC2:TRAP_HANDLER: 0
; COMPUTE_PGM_RSRC2:TGID_X_EN: 1
; COMPUTE_PGM_RSRC2:TGID_Y_EN: 1
; COMPUTE_PGM_RSRC2:TGID_Z_EN: 1
; COMPUTE_PGM_RSRC2:TIDIG_COMP_CNT: 1
	.text
	.p2alignl 7, 3214868480
	.fill 96, 4, 3214868480
	.type	__hip_cuid_441bc477a75350d9,@object ; @__hip_cuid_441bc477a75350d9
	.section	.bss,"aw",@nobits
	.globl	__hip_cuid_441bc477a75350d9
__hip_cuid_441bc477a75350d9:
	.byte	0                               ; 0x0
	.size	__hip_cuid_441bc477a75350d9, 1

	.ident	"AMD clang version 19.0.0git (https://github.com/RadeonOpenCompute/llvm-project roc-6.4.0 25133 c7fe45cf4b819c5991fe208aaa96edf142730f1d)"
	.section	".note.GNU-stack","",@progbits
	.addrsig
	.addrsig_sym __hip_cuid_441bc477a75350d9
	.amdgpu_metadata
---
amdhsa.kernels:
  - .args:
      - .actual_access:  read_only
        .address_space:  global
        .offset:         0
        .size:           8
        .value_kind:     global_buffer
      - .actual_access:  write_only
        .address_space:  global
        .offset:         8
        .size:           8
        .value_kind:     global_buffer
      - .address_space:  global
        .offset:         16
        .size:           8
        .value_kind:     global_buffer
      - .offset:         24
        .size:           4
        .value_kind:     by_value
      - .offset:         28
        .size:           4
        .value_kind:     by_value
      - .offset:         32
        .size:           4
        .value_kind:     by_value
      - .offset:         36
        .size:           4
        .value_kind:     by_value
      - .offset:         40
        .size:           4
        .value_kind:     by_value
      - .offset:         44
        .size:           4
        .value_kind:     by_value
      - .offset:         48
        .size:           4
        .value_kind:     hidden_block_count_x
      - .offset:         52
        .size:           4
        .value_kind:     hidden_block_count_y
      - .offset:         56
        .size:           4
        .value_kind:     hidden_block_count_z
      - .offset:         60
        .size:           2
        .value_kind:     hidden_group_size_x
      - .offset:         62
        .size:           2
        .value_kind:     hidden_group_size_y
      - .offset:         64
        .size:           2
        .value_kind:     hidden_group_size_z
      - .offset:         66
        .size:           2
        .value_kind:     hidden_remainder_x
      - .offset:         68
        .size:           2
        .value_kind:     hidden_remainder_y
      - .offset:         70
        .size:           2
        .value_kind:     hidden_remainder_z
      - .offset:         88
        .size:           8
        .value_kind:     hidden_global_offset_x
      - .offset:         96
        .size:           8
        .value_kind:     hidden_global_offset_y
      - .offset:         104
        .size:           8
        .value_kind:     hidden_global_offset_z
      - .offset:         112
        .size:           2
        .value_kind:     hidden_grid_dims
    .group_segment_fixed_size: 0
    .kernarg_segment_align: 8
    .kernarg_segment_size: 304
    .language:       OpenCL C
    .language_version:
      - 2
      - 0
    .max_flat_workgroup_size: 1024
    .name:           _Z12dlrm_dot_fwdPKDF16_PDF16_Pfjjjjjj
    .private_segment_fixed_size: 0
    .sgpr_count:     21
    .sgpr_spill_count: 0
    .symbol:         _Z12dlrm_dot_fwdPKDF16_PDF16_Pfjjjjjj.kd
    .uniform_work_group_size: 1
    .uses_dynamic_stack: false
    .vgpr_count:     35
    .vgpr_spill_count: 0
    .wavefront_size: 32
    .workgroup_processor_mode: 1
amdhsa.target:   amdgcn-amd-amdhsa--gfx1100
amdhsa.version:
  - 1
  - 2
...

	.end_amdgpu_metadata
